;; amdgpu-corpus repo=ROCm/rocFFT kind=compiled arch=gfx950 opt=O3
	.text
	.amdgcn_target "amdgcn-amd-amdhsa--gfx950"
	.amdhsa_code_object_version 6
	.protected	bluestein_single_fwd_len44_dim1_dp_op_CI_CI ; -- Begin function bluestein_single_fwd_len44_dim1_dp_op_CI_CI
	.globl	bluestein_single_fwd_len44_dim1_dp_op_CI_CI
	.p2align	8
	.type	bluestein_single_fwd_len44_dim1_dp_op_CI_CI,@function
bluestein_single_fwd_len44_dim1_dp_op_CI_CI: ; @bluestein_single_fwd_len44_dim1_dp_op_CI_CI
; %bb.0:
	s_load_dwordx4 s[16:19], s[0:1], 0x28
	v_lshrrev_b32_e32 v52, 2, v0
	v_mov_b32_e32 v131, 0
	v_lshl_or_b32 v128, s2, 4, v52
	v_mov_b32_e32 v129, v131
	s_waitcnt lgkmcnt(0)
	v_cmp_gt_u64_e32 vcc, s[16:17], v[128:129]
	s_and_saveexec_b64 s[2:3], vcc
	s_cbranch_execz .LBB0_10
; %bb.1:
	s_load_dwordx4 s[4:7], s[0:1], 0x18
	s_load_dwordx4 s[8:11], s[0:1], 0x0
	v_and_b32_e32 v129, 3, v0
	v_mov_b32_e32 v2, s18
	v_mov_b32_e32 v3, s19
	s_waitcnt lgkmcnt(0)
	s_load_dwordx4 s[12:15], s[4:5], 0x0
	v_lshlrev_b32_e32 v130, 4, v129
	v_mul_u32_u24_e32 v136, 44, v52
	v_or_b32_e32 v52, v136, v129
	v_lshlrev_b32_e32 v135, 4, v52
	s_waitcnt lgkmcnt(0)
	v_mad_u64_u32 v[0:1], s[2:3], s14, v128, 0
	v_mov_b32_e32 v6, v1
	v_mad_u64_u32 v[4:5], s[2:3], s12, v129, 0
	v_mad_u64_u32 v[6:7], s[2:3], s15, v128, v[6:7]
	v_mov_b32_e32 v1, v6
	v_mov_b32_e32 v6, v5
	v_mad_u64_u32 v[6:7], s[2:3], s13, v129, v[6:7]
	v_mov_b32_e32 v5, v6
	v_lshl_add_u64 v[0:1], v[0:1], 4, v[2:3]
	v_lshl_add_u64 v[4:5], v[4:5], 4, v[0:1]
	s_lshl_b64 s[2:3], s[12:13], 6
	global_load_dwordx4 v[0:3], v130, s[8:9]
	global_load_dwordx4 v[44:47], v[4:5], off
	v_lshl_add_u64 v[4:5], v[4:5], 0, s[2:3]
	global_load_dwordx4 v[48:51], v[4:5], off
	global_load_dwordx4 v[20:23], v130, s[8:9] offset:64
	v_lshl_add_u64 v[4:5], v[4:5], 0, s[2:3]
	v_lshl_add_u64 v[8:9], v[4:5], 0, s[2:3]
	global_load_dwordx4 v[54:57], v[4:5], off
	global_load_dwordx4 v[32:35], v130, s[8:9] offset:128
	s_nop 0
	global_load_dwordx4 v[4:7], v130, s[8:9] offset:192
	global_load_dwordx4 v[58:61], v[8:9], off
	v_lshl_add_u64 v[12:13], v[8:9], 0, s[2:3]
	global_load_dwordx4 v[62:65], v[12:13], off
	global_load_dwordx4 v[24:27], v130, s[8:9] offset:256
	global_load_dwordx4 v[8:11], v130, s[8:9] offset:320
	v_lshl_add_u64 v[12:13], v[12:13], 0, s[2:3]
	global_load_dwordx4 v[66:69], v[12:13], off
	v_lshl_add_u64 v[16:17], v[12:13], 0, s[2:3]
	global_load_dwordx4 v[70:73], v[16:17], off
	global_load_dwordx4 v[28:31], v130, s[8:9] offset:384
	global_load_dwordx4 v[12:15], v130, s[8:9] offset:448
	v_lshl_add_u64 v[16:17], v[16:17], 0, s[2:3]
	;; [unrolled: 6-line block ×3, first 2 shown]
	global_load_dwordx4 v[82:85], v[86:87], off
	global_load_dwordx4 v[40:43], v130, s[8:9] offset:640
	v_lshl_add_u64 v[86:87], v[86:87], 0, s[2:3]
	global_load_dwordx4 v[86:89], v[86:87], off
	v_lshl_or_b32 v134, v136, 4, v130
	s_load_dwordx4 s[4:7], s[6:7], 0x0
	s_mov_b32 s24, 0xf8bb580b
	s_mov_b32 s18, 0x43842ef
	;; [unrolled: 1-line block ×26, first 2 shown]
	v_cmp_ne_u32_e32 vcc, 3, v129
	s_waitcnt vmcnt(20)
	v_mul_f64 v[90:91], v[46:47], v[2:3]
	v_mul_f64 v[52:53], v[44:45], v[2:3]
	v_fmac_f64_e32 v[90:91], v[44:45], v[0:1]
	v_fma_f64 v[92:93], v[46:47], v[0:1], -v[52:53]
	s_waitcnt vmcnt(18)
	v_mul_f64 v[44:45], v[50:51], v[22:23]
	v_mul_f64 v[46:47], v[48:49], v[22:23]
	v_fmac_f64_e32 v[44:45], v[48:49], v[20:21]
	v_fma_f64 v[46:47], v[50:51], v[20:21], -v[46:47]
	ds_write_b128 v135, v[90:93]
	ds_write_b128 v134, v[44:47] offset:64
	s_waitcnt vmcnt(14)
	v_mul_f64 v[44:45], v[60:61], v[6:7]
	v_mul_f64 v[46:47], v[58:59], v[6:7]
	v_fmac_f64_e32 v[44:45], v[58:59], v[4:5]
	v_fma_f64 v[46:47], v[60:61], v[4:5], -v[46:47]
	v_mul_f64 v[48:49], v[56:57], v[34:35]
	v_mul_f64 v[50:51], v[54:55], v[34:35]
	ds_write_b128 v134, v[44:47] offset:192
	s_waitcnt vmcnt(10)
	v_mul_f64 v[44:45], v[68:69], v[10:11]
	v_mul_f64 v[46:47], v[66:67], v[10:11]
	v_fmac_f64_e32 v[48:49], v[54:55], v[32:33]
	v_fma_f64 v[50:51], v[56:57], v[32:33], -v[50:51]
	v_fmac_f64_e32 v[44:45], v[66:67], v[8:9]
	v_fma_f64 v[46:47], v[68:69], v[8:9], -v[46:47]
	ds_write_b128 v134, v[48:51] offset:128
	v_mul_f64 v[48:49], v[64:65], v[26:27]
	v_mul_f64 v[50:51], v[62:63], v[26:27]
	ds_write_b128 v134, v[44:47] offset:320
	s_waitcnt vmcnt(6)
	v_mul_f64 v[44:45], v[76:77], v[14:15]
	v_mul_f64 v[46:47], v[74:75], v[14:15]
	v_fmac_f64_e32 v[48:49], v[62:63], v[24:25]
	v_fma_f64 v[50:51], v[64:65], v[24:25], -v[50:51]
	v_fmac_f64_e32 v[44:45], v[74:75], v[12:13]
	v_fma_f64 v[46:47], v[76:77], v[12:13], -v[46:47]
	ds_write_b128 v134, v[48:51] offset:256
	;; [unrolled: 11-line block ×4, first 2 shown]
	ds_write_b128 v134, v[44:47] offset:640
	s_waitcnt lgkmcnt(0)
	; wave barrier
	s_waitcnt lgkmcnt(0)
	ds_read_b128 v[64:67], v135
	ds_read_b128 v[72:75], v134 offset:64
	ds_read_b128 v[76:79], v134 offset:128
	;; [unrolled: 1-line block ×10, first 2 shown]
	s_waitcnt lgkmcnt(9)
	v_add_f64 v[44:45], v[64:65], v[72:73]
	v_add_f64 v[46:47], v[66:67], v[74:75]
	s_waitcnt lgkmcnt(8)
	v_add_f64 v[44:45], v[44:45], v[76:77]
	v_add_f64 v[46:47], v[46:47], v[78:79]
	;; [unrolled: 3-line block ×8, first 2 shown]
	s_waitcnt lgkmcnt(1)
	v_add_f64 v[44:45], v[44:45], v[84:85]
	s_waitcnt lgkmcnt(0)
	v_add_f64 v[92:93], v[72:73], v[88:89]
	v_add_f64 v[94:95], v[74:75], v[90:91]
	v_add_f64 v[72:73], v[72:73], -v[88:89]
	v_add_f64 v[74:75], v[74:75], -v[90:91]
	v_add_f64 v[46:47], v[46:47], v[86:87]
	v_add_f64 v[44:45], v[44:45], v[88:89]
	v_mul_f64 v[88:89], v[74:75], s[24:25]
	v_mul_f64 v[96:97], v[72:73], s[24:25]
	;; [unrolled: 1-line block ×5, first 2 shown]
	v_add_f64 v[110:111], v[76:77], v[84:85]
	v_add_f64 v[76:77], v[76:77], -v[84:85]
	v_add_f64 v[84:85], v[68:69], v[80:81]
	v_add_f64 v[68:69], v[68:69], -v[80:81]
	v_mul_f64 v[80:81], v[74:75], s[22:23]
	v_mul_f64 v[74:75], v[74:75], s[30:31]
	;; [unrolled: 1-line block ×5, first 2 shown]
	v_add_f64 v[46:47], v[46:47], v[90:91]
	v_fma_f64 v[90:91], v[92:93], s[20:21], -v[88:89]
	v_fma_f64 v[98:99], s[20:21], v[94:95], v[96:97]
	v_fmac_f64_e32 v[88:89], s[20:21], v[92:93]
	v_fma_f64 v[96:97], v[94:95], s[20:21], -v[96:97]
	v_fma_f64 v[102:103], v[92:93], s[12:13], -v[100:101]
	v_fmac_f64_e32 v[100:101], s[12:13], v[92:93]
	v_fma_f64 v[108:109], v[92:93], s[14:15], -v[106:107]
	v_fmac_f64_e32 v[106:107], s[14:15], v[92:93]
	v_add_f64 v[112:113], v[78:79], v[86:87]
	v_add_f64 v[78:79], v[78:79], -v[86:87]
	v_add_f64 v[86:87], v[70:71], v[82:83]
	v_add_f64 v[70:71], v[70:71], -v[82:83]
	v_fma_f64 v[82:83], v[92:93], s[26:27], -v[80:81]
	v_fmac_f64_e32 v[80:81], s[26:27], v[92:93]
	v_fma_f64 v[114:115], v[92:93], s[28:29], -v[74:75]
	v_fmac_f64_e32 v[74:75], s[28:29], v[92:93]
	v_fma_f64 v[92:93], s[12:13], v[94:95], v[104:105]
	v_fma_f64 v[104:105], v[94:95], s[12:13], -v[104:105]
	v_fma_f64 v[118:119], s[14:15], v[94:95], v[116:117]
	v_fma_f64 v[116:117], v[94:95], s[14:15], -v[116:117]
	;; [unrolled: 2-line block ×4, first 2 shown]
	v_add_f64 v[94:95], v[66:67], v[98:99]
	v_add_f64 v[96:97], v[66:67], v[96:97]
	;; [unrolled: 1-line block ×12, first 2 shown]
	v_mul_f64 v[72:73], v[78:79], s[16:17]
	v_add_f64 v[90:91], v[64:65], v[90:91]
	v_add_f64 v[88:89], v[64:65], v[88:89]
	;; [unrolled: 1-line block ×8, first 2 shown]
	v_fma_f64 v[74:75], v[110:111], s[12:13], -v[72:73]
	v_add_f64 v[74:75], v[74:75], v[90:91]
	v_mul_f64 v[90:91], v[76:77], s[16:17]
	v_fmac_f64_e32 v[72:73], s[12:13], v[110:111]
	v_fma_f64 v[124:125], s[12:13], v[112:113], v[90:91]
	v_add_f64 v[72:73], v[72:73], v[88:89]
	v_fma_f64 v[88:89], v[112:113], s[12:13], -v[90:91]
	v_mul_f64 v[90:91], v[78:79], s[22:23]
	v_add_f64 v[88:89], v[88:89], v[96:97]
	v_fma_f64 v[96:97], v[110:111], s[26:27], -v[90:91]
	v_add_f64 v[96:97], v[96:97], v[98:99]
	v_mul_f64 v[98:99], v[76:77], s[22:23]
	v_fmac_f64_e32 v[90:91], s[26:27], v[110:111]
	v_add_f64 v[94:95], v[124:125], v[94:95]
	v_fma_f64 v[124:125], s[26:27], v[112:113], v[98:99]
	v_add_f64 v[90:91], v[90:91], v[100:101]
	v_fma_f64 v[98:99], v[112:113], s[26:27], -v[98:99]
	v_mul_f64 v[100:101], v[78:79], s[2:3]
	v_add_f64 v[98:99], v[98:99], v[102:103]
	v_fma_f64 v[102:103], v[110:111], s[28:29], -v[100:101]
	v_add_f64 v[102:103], v[102:103], v[104:105]
	v_mul_f64 v[104:105], v[76:77], s[2:3]
	v_fmac_f64_e32 v[100:101], s[28:29], v[110:111]
	v_add_f64 v[92:93], v[124:125], v[92:93]
	v_fma_f64 v[124:125], s[28:29], v[112:113], v[104:105]
	v_add_f64 v[100:101], v[100:101], v[106:107]
	v_fma_f64 v[104:105], v[112:113], s[28:29], -v[104:105]
	v_mul_f64 v[106:107], v[78:79], s[36:37]
	v_add_f64 v[104:105], v[104:105], v[116:117]
	v_fma_f64 v[116:117], v[110:111], s[14:15], -v[106:107]
	v_add_f64 v[82:83], v[116:117], v[82:83]
	v_mul_f64 v[116:117], v[76:77], s[36:37]
	v_fmac_f64_e32 v[106:107], s[14:15], v[110:111]
	v_mul_f64 v[78:79], v[78:79], s[34:35]
	v_add_f64 v[108:109], v[124:125], v[108:109]
	v_fma_f64 v[124:125], s[14:15], v[112:113], v[116:117]
	v_add_f64 v[80:81], v[106:107], v[80:81]
	v_fma_f64 v[106:107], v[112:113], s[14:15], -v[116:117]
	v_fma_f64 v[116:117], v[110:111], s[20:21], -v[78:79]
	v_mul_f64 v[76:77], v[76:77], s[34:35]
	v_add_f64 v[114:115], v[116:117], v[114:115]
	v_fma_f64 v[116:117], s[20:21], v[112:113], v[76:77]
	v_fma_f64 v[76:77], v[112:113], s[20:21], -v[76:77]
	v_fmac_f64_e32 v[78:79], s[20:21], v[110:111]
	v_add_f64 v[66:67], v[76:77], v[66:67]
	v_mul_f64 v[76:77], v[70:71], s[18:19]
	v_add_f64 v[64:65], v[78:79], v[64:65]
	v_fma_f64 v[78:79], v[84:85], s[14:15], -v[76:77]
	v_add_f64 v[74:75], v[78:79], v[74:75]
	v_mul_f64 v[78:79], v[68:69], s[18:19]
	v_fmac_f64_e32 v[76:77], s[14:15], v[84:85]
	v_fma_f64 v[110:111], s[14:15], v[86:87], v[78:79]
	v_add_f64 v[72:73], v[76:77], v[72:73]
	v_fma_f64 v[76:77], v[86:87], s[14:15], -v[78:79]
	v_mul_f64 v[78:79], v[70:71], s[2:3]
	v_add_f64 v[76:77], v[76:77], v[88:89]
	v_fma_f64 v[88:89], v[84:85], s[28:29], -v[78:79]
	v_add_f64 v[88:89], v[88:89], v[96:97]
	v_mul_f64 v[96:97], v[68:69], s[2:3]
	v_fmac_f64_e32 v[78:79], s[28:29], v[84:85]
	s_mov_b32 s17, 0x3fed1bb4
	v_add_f64 v[94:95], v[110:111], v[94:95]
	v_fma_f64 v[110:111], s[28:29], v[86:87], v[96:97]
	v_add_f64 v[78:79], v[78:79], v[90:91]
	v_fma_f64 v[90:91], v[86:87], s[28:29], -v[96:97]
	v_mul_f64 v[96:97], v[70:71], s[16:17]
	v_add_f64 v[90:91], v[90:91], v[98:99]
	v_fma_f64 v[98:99], v[84:85], s[12:13], -v[96:97]
	v_add_f64 v[98:99], v[98:99], v[102:103]
	v_mul_f64 v[102:103], v[68:69], s[16:17]
	v_fmac_f64_e32 v[96:97], s[12:13], v[84:85]
	v_add_f64 v[92:93], v[110:111], v[92:93]
	v_fma_f64 v[110:111], s[12:13], v[86:87], v[102:103]
	v_add_f64 v[96:97], v[96:97], v[100:101]
	v_fma_f64 v[100:101], v[86:87], s[12:13], -v[102:103]
	v_mul_f64 v[102:103], v[70:71], s[24:25]
	v_add_f64 v[100:101], v[100:101], v[104:105]
	v_fma_f64 v[104:105], v[84:85], s[20:21], -v[102:103]
	v_add_f64 v[82:83], v[104:105], v[82:83]
	v_mul_f64 v[104:105], v[68:69], s[24:25]
	v_fmac_f64_e32 v[102:103], s[20:21], v[84:85]
	v_mul_f64 v[70:71], v[70:71], s[22:23]
	v_add_f64 v[106:107], v[106:107], v[120:121]
	v_add_f64 v[108:109], v[110:111], v[108:109]
	v_fma_f64 v[110:111], s[20:21], v[86:87], v[104:105]
	v_add_f64 v[80:81], v[102:103], v[80:81]
	v_fma_f64 v[102:103], v[86:87], s[20:21], -v[104:105]
	v_fma_f64 v[104:105], v[84:85], s[26:27], -v[70:71]
	v_mul_f64 v[68:69], v[68:69], s[22:23]
	v_fmac_f64_e32 v[70:71], s[26:27], v[84:85]
	v_add_f64 v[102:103], v[102:103], v[106:107]
	v_fma_f64 v[106:107], s[26:27], v[86:87], v[68:69]
	v_add_f64 v[64:65], v[70:71], v[64:65]
	v_fma_f64 v[68:69], v[86:87], s[26:27], -v[68:69]
	v_add_f64 v[70:71], v[58:59], v[62:63]
	v_add_f64 v[58:59], v[58:59], -v[62:63]
	v_add_f64 v[66:67], v[68:69], v[66:67]
	v_add_f64 v[68:69], v[56:57], v[60:61]
	v_add_f64 v[56:57], v[56:57], -v[60:61]
	v_mul_f64 v[60:61], v[58:59], s[22:23]
	v_fma_f64 v[62:63], v[68:69], s[26:27], -v[60:61]
	v_add_f64 v[62:63], v[62:63], v[74:75]
	v_mul_f64 v[74:75], v[56:57], s[22:23]
	v_fmac_f64_e32 v[60:61], s[26:27], v[68:69]
	v_fma_f64 v[84:85], s[26:27], v[70:71], v[74:75]
	v_add_f64 v[60:61], v[60:61], v[72:73]
	v_fma_f64 v[72:73], v[70:71], s[26:27], -v[74:75]
	v_mul_f64 v[74:75], v[58:59], s[36:37]
	v_add_f64 v[72:73], v[72:73], v[76:77]
	v_fma_f64 v[76:77], v[68:69], s[14:15], -v[74:75]
	v_mul_f64 v[86:87], v[56:57], s[36:37]
	v_fmac_f64_e32 v[74:75], s[14:15], v[68:69]
	v_add_f64 v[76:77], v[76:77], v[88:89]
	v_fma_f64 v[88:89], s[14:15], v[70:71], v[86:87]
	v_add_f64 v[74:75], v[74:75], v[78:79]
	v_fma_f64 v[78:79], v[70:71], s[14:15], -v[86:87]
	v_mul_f64 v[86:87], v[58:59], s[24:25]
	v_add_f64 v[78:79], v[78:79], v[90:91]
	v_fma_f64 v[90:91], v[68:69], s[20:21], -v[86:87]
	v_add_f64 v[88:89], v[88:89], v[92:93]
	v_add_f64 v[92:93], v[90:91], v[98:99]
	v_mul_f64 v[90:91], v[56:57], s[24:25]
	v_add_f64 v[84:85], v[84:85], v[94:95]
	v_fma_f64 v[94:95], s[20:21], v[70:71], v[90:91]
	v_fmac_f64_e32 v[86:87], s[20:21], v[68:69]
	v_fma_f64 v[90:91], v[70:71], s[20:21], -v[90:91]
	v_add_f64 v[86:87], v[86:87], v[96:97]
	v_add_f64 v[96:97], v[90:91], v[100:101]
	v_mul_f64 v[90:91], v[58:59], s[30:31]
	v_fma_f64 v[98:99], v[68:69], s[28:29], -v[90:91]
	v_add_f64 v[98:99], v[98:99], v[82:83]
	v_mul_f64 v[82:83], v[56:57], s[30:31]
	v_fmac_f64_e32 v[90:91], s[28:29], v[68:69]
	v_add_f64 v[94:95], v[94:95], v[108:109]
	v_add_f64 v[108:109], v[90:91], v[80:81]
	v_fma_f64 v[80:81], v[70:71], s[28:29], -v[82:83]
	v_mul_f64 v[58:59], v[58:59], s[16:17]
	v_add_f64 v[104:105], v[104:105], v[114:115]
	v_add_f64 v[102:103], v[80:81], v[102:103]
	v_fma_f64 v[80:81], v[68:69], s[12:13], -v[58:59]
	v_mul_f64 v[56:57], v[56:57], s[16:17]
	v_fmac_f64_e32 v[58:59], s[12:13], v[68:69]
	v_add_f64 v[68:69], v[50:51], -v[54:55]
	v_add_f64 v[118:119], v[124:125], v[118:119]
	v_add_f64 v[116:117], v[116:117], v[122:123]
	v_fma_f64 v[100:101], s[28:29], v[70:71], v[82:83]
	v_add_f64 v[104:105], v[80:81], v[104:105]
	v_fma_f64 v[80:81], s[12:13], v[70:71], v[56:57]
	v_fma_f64 v[56:57], v[70:71], s[12:13], -v[56:57]
	v_add_f64 v[114:115], v[48:49], v[52:53]
	v_add_f64 v[70:71], v[48:49], -v[52:53]
	v_mul_f64 v[52:53], v[68:69], s[30:31]
	v_add_f64 v[110:111], v[110:111], v[118:119]
	v_add_f64 v[106:107], v[106:107], v[116:117]
	;; [unrolled: 1-line block ×3, first 2 shown]
	v_fma_f64 v[48:49], v[114:115], s[28:29], -v[52:53]
	v_mul_f64 v[54:55], v[70:71], s[30:31]
	v_fmac_f64_e32 v[52:53], s[28:29], v[114:115]
	v_add_f64 v[100:101], v[100:101], v[110:111]
	v_add_f64 v[106:107], v[80:81], v[106:107]
	;; [unrolled: 1-line block ×5, first 2 shown]
	v_fma_f64 v[52:53], v[116:117], s[28:29], -v[54:55]
	v_mul_f64 v[56:57], v[68:69], s[34:35]
	v_mul_f64 v[58:59], v[70:71], s[34:35]
	v_fma_f64 v[50:51], s[28:29], v[116:117], v[54:55]
	v_add_f64 v[82:83], v[52:53], v[72:73]
	v_fma_f64 v[52:53], v[114:115], s[20:21], -v[56:57]
	v_fma_f64 v[54:55], s[20:21], v[116:117], v[58:59]
	v_fmac_f64_e32 v[56:57], s[20:21], v[114:115]
	v_add_f64 v[54:55], v[54:55], v[88:89]
	v_add_f64 v[88:89], v[56:57], v[74:75]
	v_fma_f64 v[56:57], v[116:117], s[20:21], -v[58:59]
	v_mul_f64 v[60:61], v[68:69], s[22:23]
	v_add_f64 v[48:49], v[48:49], v[62:63]
	v_add_f64 v[90:91], v[56:57], v[78:79]
	v_fma_f64 v[56:57], v[114:115], s[26:27], -v[60:61]
	v_mul_f64 v[62:63], v[70:71], s[22:23]
	v_fmac_f64_e32 v[60:61], s[26:27], v[114:115]
	v_add_f64 v[50:51], v[50:51], v[84:85]
	v_add_f64 v[52:53], v[52:53], v[76:77]
	v_add_f64 v[84:85], v[60:61], v[86:87]
	v_fma_f64 v[60:61], v[116:117], s[26:27], -v[62:63]
	v_mul_f64 v[64:65], v[68:69], s[16:17]
	v_mul_f64 v[66:67], v[70:71], s[16:17]
	;; [unrolled: 1-line block ×4, first 2 shown]
	v_mul_u32_u24_e32 v76, 11, v129
	v_fma_f64 v[58:59], s[26:27], v[116:117], v[62:63]
	v_add_f64 v[86:87], v[60:61], v[96:97]
	v_fma_f64 v[60:61], v[114:115], s[12:13], -v[64:65]
	v_fma_f64 v[62:63], s[12:13], v[116:117], v[66:67]
	v_fmac_f64_e32 v[64:65], s[12:13], v[114:115]
	v_fma_f64 v[66:67], v[116:117], s[12:13], -v[66:67]
	v_fma_f64 v[68:69], v[114:115], s[14:15], -v[72:73]
	v_fma_f64 v[70:71], s[14:15], v[116:117], v[74:75]
	v_fmac_f64_e32 v[72:73], s[14:15], v[114:115]
	v_fma_f64 v[74:75], v[116:117], s[14:15], -v[74:75]
	v_add_lshl_u32 v137, v136, v76, 4
	v_add_f64 v[56:57], v[56:57], v[92:93]
	v_add_f64 v[58:59], v[58:59], v[94:95]
	;; [unrolled: 1-line block ×10, first 2 shown]
	s_waitcnt lgkmcnt(0)
	; wave barrier
	ds_write_b128 v137, v[44:47]
	ds_write_b128 v137, v[48:51] offset:16
	ds_write_b128 v137, v[52:55] offset:32
	ds_write_b128 v137, v[56:59] offset:48
	ds_write_b128 v137, v[60:63] offset:64
	ds_write_b128 v137, v[68:71] offset:80
	ds_write_b128 v137, v[72:75] offset:96
	ds_write_b128 v137, v[64:67] offset:112
	ds_write_b128 v137, v[84:87] offset:128
	ds_write_b128 v137, v[88:91] offset:144
	ds_write_b128 v137, v[80:83] offset:160
	s_waitcnt lgkmcnt(0)
	; wave barrier
	s_waitcnt lgkmcnt(0)
	ds_read_b128 v[96:99], v135
	ds_read_b128 v[92:95], v134 offset:64
	ds_read_b128 v[116:119], v134 offset:176
	;; [unrolled: 1-line block ×7, first 2 shown]
	s_load_dwordx2 s[2:3], s[0:1], 0x38
	v_cmp_eq_u32_e64 s[0:1], 3, v129
                                        ; implicit-def: $vgpr100_vgpr101
	s_and_saveexec_b64 s[12:13], vcc
	s_cbranch_execz .LBB0_3
; %bb.2:
	ds_read_b128 v[84:87], v134 offset:128
	ds_read_b128 v[88:91], v134 offset:304
	ds_read_b128 v[80:83], v134 offset:480
	ds_read_b128 v[100:103], v134 offset:656
.LBB0_3:
	s_or_b64 exec, exec, s[12:13]
	v_mad_u64_u32 v[44:45], s[12:13], v129, 48, s[10:11]
	global_load_dwordx4 v[64:67], v[44:45], off
	global_load_dwordx4 v[60:63], v[44:45], off offset:16
	global_load_dwordx4 v[56:59], v[44:45], off offset:32
	global_load_dwordx4 v[76:79], v[44:45], off offset:192
	global_load_dwordx4 v[72:75], v[44:45], off offset:208
	global_load_dwordx4 v[68:71], v[44:45], off offset:224
	v_or_b32_e32 v44, 8, v129
	v_mul_hi_u32_u24_e32 v45, 3, v44
	v_mul_u32_u24_e32 v44, 3, v44
	v_cndmask_b32_e64 v45, v45, 0, s[0:1]
	v_cndmask_b32_e64 v44, v44, 0, s[0:1]
	v_lshl_add_u64 v[44:45], v[44:45], 4, s[10:11]
	global_load_dwordx4 v[48:51], v[44:45], off
	global_load_dwordx4 v[52:55], v[44:45], off offset:16
	s_nop 0
	global_load_dwordx4 v[44:47], v[44:45], off offset:32
	v_lshl_add_u64 v[132:133], s[8:9], 0, v[130:131]
	s_waitcnt vmcnt(8) lgkmcnt(0)
	v_mul_f64 v[138:139], v[118:119], v[66:67]
	v_mul_f64 v[140:141], v[116:117], v[66:67]
	s_waitcnt vmcnt(7)
	v_mul_f64 v[142:143], v[122:123], v[62:63]
	v_mul_f64 v[144:145], v[120:121], v[62:63]
	s_waitcnt vmcnt(6)
	;; [unrolled: 3-line block ×5, first 2 shown]
	v_mul_f64 v[158:159], v[114:115], v[70:71]
	v_mul_f64 v[160:161], v[112:113], v[70:71]
	v_fma_f64 v[116:117], v[116:117], v[64:65], -v[138:139]
	v_fmac_f64_e32 v[140:141], v[118:119], v[64:65]
	v_fma_f64 v[118:119], v[120:121], v[60:61], -v[142:143]
	v_fmac_f64_e32 v[144:145], v[122:123], v[60:61]
	;; [unrolled: 2-line block ×6, first 2 shown]
	v_add_f64 v[114:115], v[96:97], -v[118:119]
	v_add_f64 v[118:119], v[98:99], -v[144:145]
	;; [unrolled: 1-line block ×8, first 2 shown]
	s_waitcnt vmcnt(2)
	v_mul_f64 v[138:139], v[90:91], v[50:51]
	v_mul_f64 v[104:105], v[88:89], v[50:51]
	s_waitcnt vmcnt(1)
	v_mul_f64 v[142:143], v[82:83], v[54:55]
	v_mul_f64 v[146:147], v[80:81], v[54:55]
	;; [unrolled: 3-line block ×3, first 2 shown]
	v_fma_f64 v[96:97], v[96:97], 2.0, -v[114:115]
	v_fma_f64 v[150:151], v[98:99], 2.0, -v[118:119]
	;; [unrolled: 1-line block ×4, first 2 shown]
	v_add_f64 v[108:109], v[118:119], v[108:109]
	v_fma_f64 v[92:93], v[92:93], 2.0, -v[124:125]
	v_fma_f64 v[94:95], v[94:95], 2.0, -v[126:127]
	;; [unrolled: 1-line block ×4, first 2 shown]
	v_add_f64 v[106:107], v[114:115], -v[110:111]
	v_add_f64 v[110:111], v[124:125], -v[120:121]
	v_fma_f64 v[88:89], v[88:89], v[48:49], -v[138:139]
	v_fmac_f64_e32 v[104:105], v[90:91], v[48:49]
	v_fma_f64 v[80:81], v[80:81], v[52:53], -v[142:143]
	v_fmac_f64_e32 v[146:147], v[82:83], v[52:53]
	;; [unrolled: 2-line block ×3, first 2 shown]
	v_add_f64 v[98:99], v[96:97], -v[98:99]
	v_add_f64 v[100:101], v[150:151], -v[116:117]
	v_fma_f64 v[116:117], v[118:119], 2.0, -v[108:109]
	v_add_f64 v[118:119], v[92:93], -v[122:123]
	v_add_f64 v[120:121], v[94:95], -v[140:141]
	v_fma_f64 v[138:139], v[96:97], 2.0, -v[98:99]
	v_fma_f64 v[142:143], v[92:93], 2.0, -v[118:119]
	;; [unrolled: 1-line block ×3, first 2 shown]
	v_add_f64 v[90:91], v[84:85], -v[80:81]
	v_add_f64 v[94:95], v[86:87], -v[146:147]
	;; [unrolled: 1-line block ×4, first 2 shown]
	v_add_f64 v[112:113], v[126:127], v[112:113]
	v_fma_f64 v[140:141], v[150:151], 2.0, -v[100:101]
	v_add_f64 v[80:81], v[90:91], -v[96:97]
	v_add_f64 v[82:83], v[94:95], v[92:93]
	v_fma_f64 v[114:115], v[114:115], 2.0, -v[106:107]
	v_fma_f64 v[122:123], v[124:125], 2.0, -v[110:111]
	;; [unrolled: 1-line block ×3, first 2 shown]
	ds_write_b128 v135, v[138:141]
	ds_write_b128 v134, v[114:117] offset:176
	ds_write_b128 v134, v[98:101] offset:352
	;; [unrolled: 1-line block ×7, first 2 shown]
	s_and_saveexec_b64 s[0:1], vcc
	s_cbranch_execz .LBB0_5
; %bb.4:
	v_fma_f64 v[100:101], v[94:95], 2.0, -v[82:83]
	v_fma_f64 v[98:99], v[90:91], 2.0, -v[80:81]
	;; [unrolled: 1-line block ×6, first 2 shown]
	v_add_f64 v[86:87], v[94:95], -v[86:87]
	v_add_f64 v[84:85], v[90:91], -v[84:85]
	v_fma_f64 v[94:95], v[94:95], 2.0, -v[86:87]
	v_fma_f64 v[92:93], v[90:91], 2.0, -v[84:85]
	ds_write_b128 v134, v[92:95] offset:128
	ds_write_b128 v134, v[98:101] offset:304
	ds_write_b128 v134, v[84:87] offset:480
	ds_write_b128 v134, v[80:83] offset:656
.LBB0_5:
	s_or_b64 exec, exec, s[0:1]
	s_waitcnt lgkmcnt(0)
	; wave barrier
	s_waitcnt lgkmcnt(0)
	global_load_dwordx4 v[88:91], v[132:133], off offset:704
	s_add_u32 s0, s8, 0x2c0
	s_addc_u32 s1, s9, 0
	global_load_dwordx4 v[84:87], v130, s[0:1] offset:64
	global_load_dwordx4 v[92:95], v130, s[0:1] offset:128
	;; [unrolled: 1-line block ×10, first 2 shown]
	ds_read_b128 v[138:141], v135
	v_lshl_add_u32 v130, v136, 4, v130
	s_mov_b32 s16, 0xf8bb580b
	s_mov_b32 s8, 0x8eee2c13
	;; [unrolled: 1-line block ×24, first 2 shown]
	s_waitcnt vmcnt(10) lgkmcnt(0)
	v_mul_f64 v[132:133], v[140:141], v[90:91]
	v_mul_f64 v[144:145], v[138:139], v[90:91]
	v_fma_f64 v[142:143], v[138:139], v[88:89], -v[132:133]
	v_fmac_f64_e32 v[144:145], v[140:141], v[88:89]
	ds_write_b128 v135, v[142:145]
	ds_read_b128 v[88:91], v130 offset:128
	ds_read_b128 v[138:141], v134 offset:64
	;; [unrolled: 1-line block ×10, first 2 shown]
	s_waitcnt vmcnt(9) lgkmcnt(8)
	v_mul_f64 v[132:133], v[140:141], v[86:87]
	v_mul_f64 v[176:177], v[138:139], v[86:87]
	s_waitcnt vmcnt(8)
	v_mul_f64 v[178:179], v[90:91], v[94:95]
	v_mul_f64 v[86:87], v[88:89], v[94:95]
	s_waitcnt vmcnt(7) lgkmcnt(7)
	v_mul_f64 v[180:181], v[144:145], v[98:99]
	v_mul_f64 v[94:95], v[142:143], v[98:99]
	s_waitcnt vmcnt(6) lgkmcnt(6)
	;; [unrolled: 3-line block ×8, first 2 shown]
	v_mul_f64 v[194:195], v[172:173], v[126:127]
	v_mul_f64 v[122:123], v[170:171], v[126:127]
	v_fma_f64 v[174:175], v[138:139], v[84:85], -v[132:133]
	v_fmac_f64_e32 v[176:177], v[140:141], v[84:85]
	v_fma_f64 v[84:85], v[88:89], v[92:93], -v[178:179]
	v_fmac_f64_e32 v[86:87], v[90:91], v[92:93]
	;; [unrolled: 2-line block ×10, first 2 shown]
	ds_write_b128 v134, v[174:177] offset:64
	ds_write_b128 v130, v[84:87] offset:128
	;; [unrolled: 1-line block ×10, first 2 shown]
	s_waitcnt lgkmcnt(0)
	; wave barrier
	s_waitcnt lgkmcnt(0)
	ds_read_b128 v[108:111], v135
	ds_read_b128 v[112:115], v134 offset:64
	ds_read_b128 v[116:119], v130 offset:128
	;; [unrolled: 1-line block ×10, first 2 shown]
	s_waitcnt lgkmcnt(9)
	v_add_f64 v[96:97], v[108:109], v[112:113]
	v_add_f64 v[98:99], v[110:111], v[114:115]
	s_waitcnt lgkmcnt(8)
	v_add_f64 v[96:97], v[96:97], v[116:117]
	v_add_f64 v[98:99], v[98:99], v[118:119]
	;; [unrolled: 3-line block ×8, first 2 shown]
	s_waitcnt lgkmcnt(1)
	v_add_f64 v[96:97], v[96:97], v[124:125]
	s_waitcnt lgkmcnt(0)
	v_add_f64 v[142:143], v[114:115], v[140:141]
	v_add_f64 v[114:115], v[114:115], -v[140:141]
	v_add_f64 v[98:99], v[98:99], v[126:127]
	v_add_f64 v[96:97], v[96:97], v[138:139]
	;; [unrolled: 1-line block ×3, first 2 shown]
	v_add_f64 v[112:113], v[112:113], -v[138:139]
	v_mul_f64 v[138:139], v[114:115], s[16:17]
	v_mul_f64 v[148:149], v[114:115], s[8:9]
	;; [unrolled: 1-line block ×5, first 2 shown]
	v_add_f64 v[98:99], v[98:99], v[140:141]
	v_fma_f64 v[140:141], s[18:19], v[132:133], v[138:139]
	v_fma_f64 v[138:139], v[132:133], s[18:19], -v[138:139]
	v_fma_f64 v[150:151], s[10:11], v[132:133], v[148:149]
	v_fma_f64 v[148:149], v[132:133], s[10:11], -v[148:149]
	;; [unrolled: 2-line block ×5, first 2 shown]
	v_add_f64 v[140:141], v[108:109], v[140:141]
	v_mul_f64 v[144:145], v[142:143], s[18:19]
	v_add_f64 v[138:139], v[108:109], v[138:139]
	v_add_f64 v[150:151], v[108:109], v[150:151]
	v_mul_f64 v[152:153], v[142:143], s[10:11]
	v_add_f64 v[148:149], v[108:109], v[148:149]
	;; [unrolled: 3-line block ×5, first 2 shown]
	v_add_f64 v[114:115], v[118:119], v[126:127]
	v_add_f64 v[118:119], v[118:119], -v[126:127]
	v_fma_f64 v[146:147], s[20:21], v[112:113], v[144:145]
	v_fmac_f64_e32 v[144:145], s[16:17], v[112:113]
	v_fma_f64 v[154:155], s[12:13], v[112:113], v[152:153]
	v_fmac_f64_e32 v[152:153], s[8:9], v[112:113]
	;; [unrolled: 2-line block ×5, first 2 shown]
	v_add_f64 v[112:113], v[116:117], v[124:125]
	v_add_f64 v[116:117], v[116:117], -v[124:125]
	v_mul_f64 v[124:125], v[118:119], s[8:9]
	v_fma_f64 v[126:127], s[10:11], v[112:113], v[124:125]
	v_mul_f64 v[132:133], v[114:115], s[10:11]
	v_fma_f64 v[124:125], v[112:113], s[10:11], -v[124:125]
	v_add_f64 v[144:145], v[110:111], v[144:145]
	v_add_f64 v[126:127], v[126:127], v[140:141]
	v_fma_f64 v[140:141], s[12:13], v[116:117], v[132:133]
	v_add_f64 v[124:125], v[124:125], v[138:139]
	v_fmac_f64_e32 v[132:133], s[8:9], v[116:117]
	v_mul_f64 v[138:139], v[118:119], s[24:25]
	v_add_f64 v[146:147], v[110:111], v[146:147]
	v_add_f64 v[154:155], v[110:111], v[154:155]
	;; [unrolled: 1-line block ×10, first 2 shown]
	v_fma_f64 v[142:143], s[26:27], v[112:113], v[138:139]
	v_mul_f64 v[144:145], v[114:115], s[26:27]
	v_fma_f64 v[138:139], v[112:113], s[26:27], -v[138:139]
	v_add_f64 v[140:141], v[140:141], v[146:147]
	v_fma_f64 v[146:147], s[28:29], v[116:117], v[144:145]
	v_add_f64 v[138:139], v[138:139], v[148:149]
	v_fmac_f64_e32 v[144:145], s[24:25], v[116:117]
	v_mul_f64 v[148:149], v[118:119], s[36:37]
	v_add_f64 v[142:143], v[142:143], v[150:151]
	v_add_f64 v[144:145], v[144:145], v[152:153]
	v_fma_f64 v[150:151], s[34:35], v[112:113], v[148:149]
	v_mul_f64 v[152:153], v[114:115], s[34:35]
	v_fma_f64 v[148:149], v[112:113], s[34:35], -v[148:149]
	v_add_f64 v[146:147], v[146:147], v[154:155]
	v_fma_f64 v[154:155], s[30:31], v[116:117], v[152:153]
	v_add_f64 v[148:149], v[148:149], v[156:157]
	v_fmac_f64_e32 v[152:153], s[36:37], v[116:117]
	v_mul_f64 v[156:157], v[118:119], s[22:23]
	v_add_f64 v[150:151], v[150:151], v[158:159]
	v_add_f64 v[152:153], v[152:153], v[160:161]
	v_fma_f64 v[158:159], s[14:15], v[112:113], v[156:157]
	v_mul_f64 v[160:161], v[114:115], s[14:15]
	v_mul_f64 v[114:115], v[114:115], s[18:19]
	v_add_f64 v[158:159], v[158:159], v[166:167]
	v_fma_f64 v[156:157], v[112:113], s[14:15], -v[156:157]
	v_mul_f64 v[118:119], v[118:119], s[20:21]
	v_fma_f64 v[166:167], s[16:17], v[116:117], v[114:115]
	v_fmac_f64_e32 v[114:115], s[20:21], v[116:117]
	v_add_f64 v[156:157], v[156:157], v[164:165]
	v_fma_f64 v[164:165], s[18:19], v[112:113], v[118:119]
	v_fma_f64 v[112:113], v[112:113], s[18:19], -v[118:119]
	v_add_f64 v[110:111], v[114:115], v[110:111]
	v_add_f64 v[114:115], v[106:107], v[122:123]
	v_add_f64 v[106:107], v[106:107], -v[122:123]
	v_add_f64 v[154:155], v[154:155], v[162:163]
	v_fma_f64 v[162:163], s[0:1], v[116:117], v[160:161]
	v_fmac_f64_e32 v[160:161], s[22:23], v[116:117]
	v_add_f64 v[108:109], v[112:113], v[108:109]
	v_add_f64 v[112:113], v[104:105], v[120:121]
	v_mul_f64 v[116:117], v[106:107], s[0:1]
	v_add_f64 v[104:105], v[104:105], -v[120:121]
	v_fma_f64 v[118:119], s[14:15], v[112:113], v[116:117]
	v_mul_f64 v[120:121], v[114:115], s[14:15]
	v_fma_f64 v[116:117], v[112:113], s[14:15], -v[116:117]
	v_fma_f64 v[122:123], s[22:23], v[104:105], v[120:121]
	v_add_f64 v[116:117], v[116:117], v[124:125]
	v_fmac_f64_e32 v[120:121], s[0:1], v[104:105]
	v_mul_f64 v[124:125], v[106:107], s[36:37]
	v_add_f64 v[118:119], v[118:119], v[126:127]
	v_add_f64 v[120:121], v[120:121], v[132:133]
	v_fma_f64 v[126:127], s[34:35], v[112:113], v[124:125]
	v_mul_f64 v[132:133], v[114:115], s[34:35]
	v_fma_f64 v[124:125], v[112:113], s[34:35], -v[124:125]
	v_add_f64 v[122:123], v[122:123], v[140:141]
	v_fma_f64 v[140:141], s[30:31], v[104:105], v[132:133]
	v_add_f64 v[124:125], v[124:125], v[138:139]
	v_fmac_f64_e32 v[132:133], s[36:37], v[104:105]
	v_mul_f64 v[138:139], v[106:107], s[12:13]
	v_add_f64 v[126:127], v[126:127], v[142:143]
	v_add_f64 v[132:133], v[132:133], v[144:145]
	v_fma_f64 v[142:143], s[10:11], v[112:113], v[138:139]
	v_mul_f64 v[144:145], v[114:115], s[10:11]
	v_fma_f64 v[138:139], v[112:113], s[10:11], -v[138:139]
	v_add_f64 v[140:141], v[140:141], v[146:147]
	v_fma_f64 v[146:147], s[8:9], v[104:105], v[144:145]
	v_add_f64 v[138:139], v[138:139], v[148:149]
	v_fmac_f64_e32 v[144:145], s[12:13], v[104:105]
	v_mul_f64 v[148:149], v[106:107], s[16:17]
	v_add_f64 v[142:143], v[142:143], v[150:151]
	v_add_f64 v[144:145], v[144:145], v[152:153]
	v_fma_f64 v[150:151], s[18:19], v[112:113], v[148:149]
	v_mul_f64 v[152:153], v[114:115], s[18:19]
	v_mul_f64 v[114:115], v[114:115], s[26:27]
	v_add_f64 v[150:151], v[150:151], v[158:159]
	v_fma_f64 v[148:149], v[112:113], s[18:19], -v[148:149]
	v_mul_f64 v[106:107], v[106:107], s[24:25]
	v_fma_f64 v[158:159], s[28:29], v[104:105], v[114:115]
	v_fmac_f64_e32 v[114:115], s[24:25], v[104:105]
	v_add_f64 v[146:147], v[146:147], v[154:155]
	v_fma_f64 v[154:155], s[20:21], v[104:105], v[152:153]
	v_add_f64 v[148:149], v[148:149], v[156:157]
	v_fmac_f64_e32 v[152:153], s[16:17], v[104:105]
	v_fma_f64 v[156:157], s[26:27], v[112:113], v[106:107]
	v_fma_f64 v[106:107], v[112:113], s[26:27], -v[106:107]
	v_add_f64 v[104:105], v[114:115], v[110:111]
	v_add_f64 v[110:111], v[94:95], v[102:103]
	v_add_f64 v[94:95], v[94:95], -v[102:103]
	v_add_f64 v[106:107], v[106:107], v[108:109]
	v_add_f64 v[108:109], v[92:93], v[100:101]
	v_add_f64 v[92:93], v[92:93], -v[100:101]
	v_mul_f64 v[100:101], v[94:95], s[24:25]
	v_fma_f64 v[102:103], s[26:27], v[108:109], v[100:101]
	v_fma_f64 v[100:101], v[108:109], s[26:27], -v[100:101]
	v_add_f64 v[116:117], v[100:101], v[116:117]
	v_mul_f64 v[100:101], v[94:95], s[22:23]
	v_add_f64 v[102:103], v[102:103], v[118:119]
	v_mul_f64 v[112:113], v[110:111], s[26:27]
	v_fma_f64 v[118:119], s[14:15], v[108:109], v[100:101]
	v_fma_f64 v[100:101], v[108:109], s[14:15], -v[100:101]
	v_fma_f64 v[114:115], s[28:29], v[92:93], v[112:113]
	v_fmac_f64_e32 v[112:113], s[24:25], v[92:93]
	v_add_f64 v[124:125], v[100:101], v[124:125]
	v_mul_f64 v[100:101], v[94:95], s[16:17]
	v_add_f64 v[112:113], v[112:113], v[120:121]
	v_add_f64 v[118:119], v[118:119], v[126:127]
	v_mul_f64 v[120:121], v[110:111], s[14:15]
	v_fma_f64 v[126:127], s[18:19], v[108:109], v[100:101]
	v_fma_f64 v[100:101], v[108:109], s[18:19], -v[100:101]
	v_add_f64 v[114:115], v[114:115], v[122:123]
	v_fma_f64 v[122:123], s[0:1], v[92:93], v[120:121]
	v_fmac_f64_e32 v[120:121], s[22:23], v[92:93]
	v_add_f64 v[138:139], v[100:101], v[138:139]
	v_mul_f64 v[100:101], v[94:95], s[30:31]
	v_add_f64 v[164:165], v[164:165], v[172:173]
	v_add_f64 v[120:121], v[120:121], v[132:133]
	;; [unrolled: 1-line block ×3, first 2 shown]
	v_mul_f64 v[132:133], v[110:111], s[18:19]
	v_fma_f64 v[142:143], s[34:35], v[108:109], v[100:101]
	v_fma_f64 v[100:101], v[108:109], s[34:35], -v[100:101]
	v_mul_f64 v[94:95], v[94:95], s[12:13]
	v_add_f64 v[156:157], v[156:157], v[164:165]
	v_add_f64 v[122:123], v[122:123], v[140:141]
	v_fma_f64 v[140:141], s[20:21], v[92:93], v[132:133]
	v_fmac_f64_e32 v[132:133], s[16:17], v[92:93]
	v_add_f64 v[148:149], v[100:101], v[148:149]
	v_fma_f64 v[100:101], s[10:11], v[108:109], v[94:95]
	v_add_f64 v[160:161], v[160:161], v[168:169]
	v_add_f64 v[166:167], v[166:167], v[174:175]
	;; [unrolled: 1-line block ×4, first 2 shown]
	v_mul_f64 v[144:145], v[110:111], s[34:35]
	v_add_f64 v[150:151], v[100:101], v[156:157]
	v_mul_f64 v[100:101], v[110:111], s[10:11]
	v_add_f64 v[162:163], v[162:163], v[170:171]
	v_add_f64 v[152:153], v[152:153], v[160:161]
	;; [unrolled: 1-line block ×4, first 2 shown]
	v_fma_f64 v[146:147], s[36:37], v[92:93], v[144:145]
	v_fmac_f64_e32 v[144:145], s[30:31], v[92:93]
	v_fma_f64 v[110:111], s[8:9], v[92:93], v[100:101]
	v_add_f64 v[164:165], v[86:87], -v[90:91]
	v_add_f64 v[154:155], v[154:155], v[162:163]
	v_add_f64 v[144:145], v[144:145], v[152:153]
	;; [unrolled: 1-line block ×4, first 2 shown]
	v_add_f64 v[162:163], v[84:85], -v[88:89]
	v_mul_f64 v[84:85], v[164:165], s[30:31]
	v_fmac_f64_e32 v[100:101], s[12:13], v[92:93]
	v_add_f64 v[160:161], v[86:87], v[90:91]
	v_fma_f64 v[86:87], s[34:35], v[158:159], v[84:85]
	v_add_f64 v[156:157], v[100:101], v[104:105]
	v_add_f64 v[100:101], v[86:87], v[102:103]
	v_mul_f64 v[86:87], v[160:161], s[34:35]
	v_fma_f64 v[88:89], s[36:37], v[162:163], v[86:87]
	v_add_f64 v[102:103], v[88:89], v[114:115]
	v_mul_f64 v[88:89], v[164:165], s[20:21]
	v_fma_f64 v[90:91], s[18:19], v[158:159], v[88:89]
	v_add_f64 v[104:105], v[90:91], v[118:119]
	v_mul_f64 v[90:91], v[160:161], s[18:19]
	v_fma_f64 v[94:95], v[108:109], s[10:11], -v[94:95]
	v_fma_f64 v[92:93], s[16:17], v[162:163], v[90:91]
	v_add_f64 v[146:147], v[146:147], v[154:155]
	v_add_f64 v[154:155], v[94:95], v[106:107]
	;; [unrolled: 1-line block ×3, first 2 shown]
	v_mul_f64 v[92:93], v[164:165], s[24:25]
	v_fma_f64 v[84:85], v[158:159], s[34:35], -v[84:85]
	v_fma_f64 v[88:89], v[158:159], s[18:19], -v[88:89]
	v_fma_f64 v[94:95], s[26:27], v[158:159], v[92:93]
	v_add_f64 v[84:85], v[84:85], v[116:117]
	v_fmac_f64_e32 v[86:87], s[30:31], v[162:163]
	v_add_f64 v[88:89], v[88:89], v[124:125]
	v_fmac_f64_e32 v[90:91], s[20:21], v[162:163]
	v_add_f64 v[108:109], v[94:95], v[126:127]
	v_mul_f64 v[94:95], v[160:161], s[26:27]
	v_mul_f64 v[116:117], v[164:165], s[12:13]
	;; [unrolled: 1-line block ×5, first 2 shown]
	v_add_f64 v[86:87], v[86:87], v[112:113]
	v_add_f64 v[90:91], v[90:91], v[120:121]
	v_fma_f64 v[110:111], s[28:29], v[162:163], v[94:95]
	v_fma_f64 v[112:113], s[10:11], v[158:159], v[116:117]
	;; [unrolled: 1-line block ×3, first 2 shown]
	v_fma_f64 v[116:117], v[158:159], s[10:11], -v[116:117]
	v_fmac_f64_e32 v[118:119], s[12:13], v[162:163]
	v_fma_f64 v[120:121], s[14:15], v[158:159], v[124:125]
	v_fma_f64 v[122:123], s[22:23], v[162:163], v[126:127]
	v_fma_f64 v[124:125], v[158:159], s[14:15], -v[124:125]
	v_fmac_f64_e32 v[126:127], s[0:1], v[162:163]
	v_add_f64 v[110:111], v[110:111], v[140:141]
	v_fma_f64 v[92:93], v[158:159], s[26:27], -v[92:93]
	v_fmac_f64_e32 v[94:95], s[24:25], v[162:163]
	v_add_f64 v[112:113], v[112:113], v[142:143]
	v_add_f64 v[114:115], v[114:115], v[146:147]
	;; [unrolled: 1-line block ×10, first 2 shown]
	s_waitcnt lgkmcnt(0)
	; wave barrier
	ds_write_b128 v137, v[96:99]
	ds_write_b128 v137, v[100:103] offset:16
	ds_write_b128 v137, v[104:107] offset:32
	;; [unrolled: 1-line block ×10, first 2 shown]
	s_waitcnt lgkmcnt(0)
	; wave barrier
	s_waitcnt lgkmcnt(0)
	ds_read_b128 v[100:103], v135
	ds_read_b128 v[96:99], v134 offset:64
	ds_read_b128 v[124:127], v134 offset:176
	;; [unrolled: 1-line block ×7, first 2 shown]
	s_and_saveexec_b64 s[0:1], vcc
	s_cbranch_execz .LBB0_7
; %bb.6:
	ds_read_b128 v[88:91], v134 offset:304
	ds_read_b128 v[84:87], v134 offset:480
	;; [unrolled: 1-line block ×4, first 2 shown]
.LBB0_7:
	s_or_b64 exec, exec, s[0:1]
	s_waitcnt lgkmcnt(5)
	v_mul_f64 v[132:133], v[66:67], v[126:127]
	v_mul_f64 v[66:67], v[66:67], v[124:125]
	v_fmac_f64_e32 v[132:133], v[64:65], v[124:125]
	v_fma_f64 v[64:65], v[64:65], v[126:127], -v[66:67]
	s_waitcnt lgkmcnt(3)
	v_mul_f64 v[66:67], v[62:63], v[122:123]
	v_mul_f64 v[62:63], v[62:63], v[120:121]
	v_fmac_f64_e32 v[66:67], v[60:61], v[120:121]
	v_fma_f64 v[60:61], v[60:61], v[122:123], -v[62:63]
	;; [unrolled: 5-line block ×3, first 2 shown]
	v_mul_f64 v[116:117], v[78:79], v[114:115]
	v_mul_f64 v[58:59], v[78:79], v[112:113]
	v_fmac_f64_e32 v[116:117], v[76:77], v[112:113]
	v_fma_f64 v[76:77], v[76:77], v[114:115], -v[58:59]
	v_mul_f64 v[78:79], v[74:75], v[110:111]
	v_mul_f64 v[58:59], v[74:75], v[108:109]
	v_fmac_f64_e32 v[78:79], v[72:73], v[108:109]
	v_fma_f64 v[72:73], v[72:73], v[110:111], -v[58:59]
	s_waitcnt lgkmcnt(0)
	v_mul_f64 v[74:75], v[70:71], v[106:107]
	v_mul_f64 v[58:59], v[70:71], v[104:105]
	v_add_f64 v[70:71], v[102:103], -v[60:61]
	v_fmac_f64_e32 v[74:75], v[68:69], v[104:105]
	v_fma_f64 v[104:105], v[68:69], v[106:107], -v[58:59]
	v_add_f64 v[68:69], v[100:101], -v[66:67]
	v_fma_f64 v[66:67], v[102:103], 2.0, -v[70:71]
	v_add_f64 v[102:103], v[64:65], -v[56:57]
	v_fma_f64 v[58:59], v[64:65], 2.0, -v[102:103]
	v_fma_f64 v[60:61], v[100:101], 2.0, -v[68:69]
	v_add_f64 v[100:101], v[132:133], -v[62:63]
	v_add_f64 v[58:59], v[66:67], -v[58:59]
	v_fma_f64 v[56:57], v[132:133], 2.0, -v[100:101]
	v_fma_f64 v[62:63], v[66:67], 2.0, -v[58:59]
	v_add_f64 v[64:65], v[68:69], v[102:103]
	v_add_f64 v[66:67], v[70:71], -v[100:101]
	v_add_f64 v[100:101], v[96:97], -v[78:79]
	v_add_f64 v[102:103], v[98:99], -v[72:73]
	v_fma_f64 v[78:79], v[96:97], 2.0, -v[100:101]
	v_fma_f64 v[96:97], v[98:99], 2.0, -v[102:103]
	v_add_f64 v[98:99], v[116:117], -v[74:75]
	v_add_f64 v[104:105], v[76:77], -v[104:105]
	v_fma_f64 v[72:73], v[116:117], 2.0, -v[98:99]
	v_fma_f64 v[74:75], v[76:77], 2.0, -v[104:105]
	v_add_f64 v[56:57], v[60:61], -v[56:57]
	v_add_f64 v[72:73], v[78:79], -v[72:73]
	;; [unrolled: 1-line block ×3, first 2 shown]
	v_fma_f64 v[60:61], v[60:61], 2.0, -v[56:57]
	v_fma_f64 v[76:77], v[78:79], 2.0, -v[72:73]
	;; [unrolled: 1-line block ×3, first 2 shown]
	v_add_f64 v[96:97], v[100:101], v[104:105]
	v_add_f64 v[98:99], v[102:103], -v[98:99]
	v_fma_f64 v[68:69], v[68:69], 2.0, -v[64:65]
	v_fma_f64 v[70:71], v[70:71], 2.0, -v[66:67]
	;; [unrolled: 1-line block ×4, first 2 shown]
	ds_write_b128 v135, v[60:63]
	ds_write_b128 v134, v[68:71] offset:176
	ds_write_b128 v134, v[56:59] offset:352
	;; [unrolled: 1-line block ×7, first 2 shown]
	s_and_saveexec_b64 s[0:1], vcc
	s_cbranch_execz .LBB0_9
; %bb.8:
	v_mul_f64 v[56:57], v[54:55], v[84:85]
	v_fma_f64 v[56:57], v[52:53], v[86:87], -v[56:57]
	v_add_f64 v[62:63], v[94:95], -v[56:57]
	v_mul_f64 v[64:65], v[50:51], v[90:91]
	v_mul_f64 v[56:57], v[46:47], v[82:83]
	v_mul_f64 v[54:55], v[54:55], v[86:87]
	v_mul_f64 v[50:51], v[50:51], v[88:89]
	v_mul_f64 v[46:47], v[46:47], v[80:81]
	v_fmac_f64_e32 v[64:65], v[48:49], v[88:89]
	v_fmac_f64_e32 v[56:57], v[44:45], v[80:81]
	;; [unrolled: 1-line block ×3, first 2 shown]
	v_fma_f64 v[48:49], v[48:49], v[90:91], -v[50:51]
	v_fma_f64 v[44:45], v[44:45], v[82:83], -v[46:47]
	v_add_f64 v[52:53], v[92:93], -v[54:55]
	v_add_f64 v[44:45], v[48:49], -v[44:45]
	;; [unrolled: 1-line block ×3, first 2 shown]
	v_add_f64 v[54:55], v[52:53], v[44:45]
	v_fma_f64 v[50:51], v[94:95], 2.0, -v[62:63]
	v_fma_f64 v[44:45], v[48:49], 2.0, -v[44:45]
	v_add_f64 v[46:47], v[50:51], -v[44:45]
	v_fma_f64 v[48:49], v[92:93], 2.0, -v[52:53]
	v_fma_f64 v[44:45], v[64:65], 2.0, -v[66:67]
	v_add_f64 v[44:45], v[48:49], -v[44:45]
	v_add_f64 v[56:57], v[62:63], -v[66:67]
	v_fma_f64 v[50:51], v[50:51], 2.0, -v[46:47]
	v_fma_f64 v[48:49], v[48:49], 2.0, -v[44:45]
	;; [unrolled: 1-line block ×4, first 2 shown]
	ds_write_b128 v130, v[48:51] offset:128
	ds_write_b128 v134, v[58:61] offset:304
	;; [unrolled: 1-line block ×4, first 2 shown]
.LBB0_9:
	s_or_b64 exec, exec, s[0:1]
	s_waitcnt lgkmcnt(0)
	; wave barrier
	s_waitcnt lgkmcnt(0)
	ds_read_b128 v[44:47], v135
	v_mad_u64_u32 v[58:59], s[0:1], s6, v128, 0
	v_mov_b32_e32 v48, v59
	v_mad_u64_u32 v[48:49], s[0:1], s7, v128, v[48:49]
	v_mov_b32_e32 v59, v48
	ds_read_b128 v[48:51], v134 offset:64
	s_waitcnt lgkmcnt(1)
	v_mul_f64 v[52:53], v[2:3], v[46:47]
	s_mov_b32 s0, 0x745d1746
	v_mul_f64 v[2:3], v[2:3], v[44:45]
	v_fmac_f64_e32 v[52:53], v[0:1], v[44:45]
	s_mov_b32 s1, 0x3f9745d1
	v_fma_f64 v[0:1], v[0:1], v[46:47], -v[2:3]
	v_mov_b32_e32 v56, s2
	v_mov_b32_e32 v57, s3
	v_mul_f64 v[54:55], v[0:1], s[0:1]
	v_mad_u64_u32 v[0:1], s[2:3], s4, v129, 0
	v_mov_b32_e32 v2, v1
	v_mad_u64_u32 v[2:3], s[2:3], s5, v129, v[2:3]
	v_mov_b32_e32 v1, v2
	v_lshl_add_u64 v[2:3], v[58:59], 4, v[56:57]
	v_lshl_add_u64 v[44:45], v[0:1], 4, v[2:3]
	s_waitcnt lgkmcnt(0)
	v_mul_f64 v[0:1], v[22:23], v[50:51]
	v_mul_f64 v[2:3], v[22:23], v[48:49]
	v_fmac_f64_e32 v[0:1], v[20:21], v[48:49]
	v_fma_f64 v[2:3], v[20:21], v[50:51], -v[2:3]
	ds_read_b128 v[20:23], v130 offset:128
	v_mul_f64 v[52:53], v[52:53], s[0:1]
	s_lshl_b64 s[2:3], s[4:5], 6
	global_store_dwordx4 v[44:45], v[52:55], off
	v_mul_f64 v[0:1], v[0:1], s[0:1]
	v_mul_f64 v[2:3], v[2:3], s[0:1]
	v_lshl_add_u64 v[44:45], v[44:45], 0, s[2:3]
	global_store_dwordx4 v[44:45], v[0:3], off
	v_lshl_add_u64 v[44:45], v[44:45], 0, s[2:3]
	s_waitcnt lgkmcnt(0)
	v_mul_f64 v[0:1], v[34:35], v[22:23]
	v_mul_f64 v[2:3], v[34:35], v[20:21]
	v_fmac_f64_e32 v[0:1], v[32:33], v[20:21]
	v_fma_f64 v[2:3], v[32:33], v[22:23], -v[2:3]
	ds_read_b128 v[20:23], v134 offset:192
	v_mul_f64 v[0:1], v[0:1], s[0:1]
	v_mul_f64 v[2:3], v[2:3], s[0:1]
	global_store_dwordx4 v[44:45], v[0:3], off
	ds_read_b128 v[0:3], v134 offset:256
	s_waitcnt lgkmcnt(1)
	v_mul_f64 v[32:33], v[6:7], v[22:23]
	v_mul_f64 v[6:7], v[6:7], v[20:21]
	v_fmac_f64_e32 v[32:33], v[4:5], v[20:21]
	v_fma_f64 v[4:5], v[4:5], v[22:23], -v[6:7]
	v_mul_f64 v[34:35], v[4:5], s[0:1]
	s_waitcnt lgkmcnt(0)
	v_mul_f64 v[4:5], v[26:27], v[2:3]
	v_fmac_f64_e32 v[4:5], v[24:25], v[0:1]
	v_mul_f64 v[0:1], v[26:27], v[0:1]
	v_fma_f64 v[6:7], v[24:25], v[2:3], -v[0:1]
	ds_read_b128 v[0:3], v134 offset:320
	v_lshl_add_u64 v[20:21], v[44:45], 0, s[2:3]
	v_mul_f64 v[32:33], v[32:33], s[0:1]
	v_mul_f64 v[4:5], v[4:5], s[0:1]
	;; [unrolled: 1-line block ×3, first 2 shown]
	v_lshl_add_u64 v[24:25], v[20:21], 0, s[2:3]
	global_store_dwordx4 v[20:21], v[32:35], off
	global_store_dwordx4 v[24:25], v[4:7], off
	ds_read_b128 v[4:7], v134 offset:384
	s_waitcnt lgkmcnt(1)
	v_mul_f64 v[20:21], v[10:11], v[2:3]
	v_fmac_f64_e32 v[20:21], v[8:9], v[0:1]
	v_mul_f64 v[0:1], v[10:11], v[0:1]
	v_fma_f64 v[0:1], v[8:9], v[2:3], -v[0:1]
	v_mul_f64 v[22:23], v[0:1], s[0:1]
	s_waitcnt lgkmcnt(0)
	v_mul_f64 v[0:1], v[30:31], v[6:7]
	v_mul_f64 v[2:3], v[30:31], v[4:5]
	v_fmac_f64_e32 v[0:1], v[28:29], v[4:5]
	v_fma_f64 v[2:3], v[28:29], v[6:7], -v[2:3]
	ds_read_b128 v[4:7], v134 offset:448
	v_mul_f64 v[20:21], v[20:21], s[0:1]
	v_lshl_add_u64 v[8:9], v[24:25], 0, s[2:3]
	global_store_dwordx4 v[8:9], v[20:23], off
	v_mul_f64 v[0:1], v[0:1], s[0:1]
	v_mul_f64 v[2:3], v[2:3], s[0:1]
	v_lshl_add_u64 v[20:21], v[8:9], 0, s[2:3]
	global_store_dwordx4 v[20:21], v[0:3], off
	ds_read_b128 v[0:3], v134 offset:512
	s_waitcnt lgkmcnt(1)
	v_mul_f64 v[8:9], v[14:15], v[6:7]
	v_fmac_f64_e32 v[8:9], v[12:13], v[4:5]
	v_mul_f64 v[4:5], v[14:15], v[4:5]
	v_fma_f64 v[4:5], v[12:13], v[6:7], -v[4:5]
	v_mul_f64 v[10:11], v[4:5], s[0:1]
	s_waitcnt lgkmcnt(0)
	v_mul_f64 v[4:5], v[38:39], v[2:3]
	v_fmac_f64_e32 v[4:5], v[36:37], v[0:1]
	v_mul_f64 v[0:1], v[38:39], v[0:1]
	v_fma_f64 v[6:7], v[36:37], v[2:3], -v[0:1]
	ds_read_b128 v[0:3], v134 offset:576
	v_mul_f64 v[8:9], v[8:9], s[0:1]
	v_lshl_add_u64 v[12:13], v[20:21], 0, s[2:3]
	global_store_dwordx4 v[12:13], v[8:11], off
	v_mul_f64 v[4:5], v[4:5], s[0:1]
	v_mul_f64 v[6:7], v[6:7], s[0:1]
	v_lshl_add_u64 v[12:13], v[12:13], 0, s[2:3]
	global_store_dwordx4 v[12:13], v[4:7], off
	ds_read_b128 v[4:7], v134 offset:640
	s_waitcnt lgkmcnt(1)
	v_mul_f64 v[8:9], v[18:19], v[2:3]
	v_fmac_f64_e32 v[8:9], v[16:17], v[0:1]
	v_mul_f64 v[0:1], v[18:19], v[0:1]
	v_fma_f64 v[0:1], v[16:17], v[2:3], -v[0:1]
	v_mul_f64 v[10:11], v[0:1], s[0:1]
	s_waitcnt lgkmcnt(0)
	v_mul_f64 v[0:1], v[42:43], v[6:7]
	v_mul_f64 v[2:3], v[42:43], v[4:5]
	v_lshl_add_u64 v[12:13], v[12:13], 0, s[2:3]
	v_fmac_f64_e32 v[0:1], v[40:41], v[4:5]
	v_fma_f64 v[2:3], v[40:41], v[6:7], -v[2:3]
	v_mul_f64 v[8:9], v[8:9], s[0:1]
	v_mul_f64 v[0:1], v[0:1], s[0:1]
	;; [unrolled: 1-line block ×3, first 2 shown]
	v_lshl_add_u64 v[4:5], v[12:13], 0, s[2:3]
	global_store_dwordx4 v[12:13], v[8:11], off
	global_store_dwordx4 v[4:5], v[0:3], off
.LBB0_10:
	s_endpgm
	.section	.rodata,"a",@progbits
	.p2align	6, 0x0
	.amdhsa_kernel bluestein_single_fwd_len44_dim1_dp_op_CI_CI
		.amdhsa_group_segment_fixed_size 11264
		.amdhsa_private_segment_fixed_size 0
		.amdhsa_kernarg_size 104
		.amdhsa_user_sgpr_count 2
		.amdhsa_user_sgpr_dispatch_ptr 0
		.amdhsa_user_sgpr_queue_ptr 0
		.amdhsa_user_sgpr_kernarg_segment_ptr 1
		.amdhsa_user_sgpr_dispatch_id 0
		.amdhsa_user_sgpr_kernarg_preload_length 0
		.amdhsa_user_sgpr_kernarg_preload_offset 0
		.amdhsa_user_sgpr_private_segment_size 0
		.amdhsa_uses_dynamic_stack 0
		.amdhsa_enable_private_segment 0
		.amdhsa_system_sgpr_workgroup_id_x 1
		.amdhsa_system_sgpr_workgroup_id_y 0
		.amdhsa_system_sgpr_workgroup_id_z 0
		.amdhsa_system_sgpr_workgroup_info 0
		.amdhsa_system_vgpr_workitem_id 0
		.amdhsa_next_free_vgpr 196
		.amdhsa_next_free_sgpr 38
		.amdhsa_accum_offset 196
		.amdhsa_reserve_vcc 1
		.amdhsa_float_round_mode_32 0
		.amdhsa_float_round_mode_16_64 0
		.amdhsa_float_denorm_mode_32 3
		.amdhsa_float_denorm_mode_16_64 3
		.amdhsa_dx10_clamp 1
		.amdhsa_ieee_mode 1
		.amdhsa_fp16_overflow 0
		.amdhsa_tg_split 0
		.amdhsa_exception_fp_ieee_invalid_op 0
		.amdhsa_exception_fp_denorm_src 0
		.amdhsa_exception_fp_ieee_div_zero 0
		.amdhsa_exception_fp_ieee_overflow 0
		.amdhsa_exception_fp_ieee_underflow 0
		.amdhsa_exception_fp_ieee_inexact 0
		.amdhsa_exception_int_div_zero 0
	.end_amdhsa_kernel
	.text
.Lfunc_end0:
	.size	bluestein_single_fwd_len44_dim1_dp_op_CI_CI, .Lfunc_end0-bluestein_single_fwd_len44_dim1_dp_op_CI_CI
                                        ; -- End function
	.section	.AMDGPU.csdata,"",@progbits
; Kernel info:
; codeLenInByte = 9608
; NumSgprs: 44
; NumVgprs: 196
; NumAgprs: 0
; TotalNumVgprs: 196
; ScratchSize: 0
; MemoryBound: 0
; FloatMode: 240
; IeeeMode: 1
; LDSByteSize: 11264 bytes/workgroup (compile time only)
; SGPRBlocks: 5
; VGPRBlocks: 24
; NumSGPRsForWavesPerEU: 44
; NumVGPRsForWavesPerEU: 196
; AccumOffset: 196
; Occupancy: 2
; WaveLimiterHint : 1
; COMPUTE_PGM_RSRC2:SCRATCH_EN: 0
; COMPUTE_PGM_RSRC2:USER_SGPR: 2
; COMPUTE_PGM_RSRC2:TRAP_HANDLER: 0
; COMPUTE_PGM_RSRC2:TGID_X_EN: 1
; COMPUTE_PGM_RSRC2:TGID_Y_EN: 0
; COMPUTE_PGM_RSRC2:TGID_Z_EN: 0
; COMPUTE_PGM_RSRC2:TIDIG_COMP_CNT: 0
; COMPUTE_PGM_RSRC3_GFX90A:ACCUM_OFFSET: 48
; COMPUTE_PGM_RSRC3_GFX90A:TG_SPLIT: 0
	.text
	.p2alignl 6, 3212836864
	.fill 256, 4, 3212836864
	.type	__hip_cuid_d163e79c96e3d401,@object ; @__hip_cuid_d163e79c96e3d401
	.section	.bss,"aw",@nobits
	.globl	__hip_cuid_d163e79c96e3d401
__hip_cuid_d163e79c96e3d401:
	.byte	0                               ; 0x0
	.size	__hip_cuid_d163e79c96e3d401, 1

	.ident	"AMD clang version 19.0.0git (https://github.com/RadeonOpenCompute/llvm-project roc-6.4.0 25133 c7fe45cf4b819c5991fe208aaa96edf142730f1d)"
	.section	".note.GNU-stack","",@progbits
	.addrsig
	.addrsig_sym __hip_cuid_d163e79c96e3d401
	.amdgpu_metadata
---
amdhsa.kernels:
  - .agpr_count:     0
    .args:
      - .actual_access:  read_only
        .address_space:  global
        .offset:         0
        .size:           8
        .value_kind:     global_buffer
      - .actual_access:  read_only
        .address_space:  global
        .offset:         8
        .size:           8
        .value_kind:     global_buffer
      - .actual_access:  read_only
        .address_space:  global
        .offset:         16
        .size:           8
        .value_kind:     global_buffer
      - .actual_access:  read_only
        .address_space:  global
        .offset:         24
        .size:           8
        .value_kind:     global_buffer
      - .actual_access:  read_only
        .address_space:  global
        .offset:         32
        .size:           8
        .value_kind:     global_buffer
      - .offset:         40
        .size:           8
        .value_kind:     by_value
      - .address_space:  global
        .offset:         48
        .size:           8
        .value_kind:     global_buffer
      - .address_space:  global
        .offset:         56
        .size:           8
        .value_kind:     global_buffer
      - .address_space:  global
        .offset:         64
        .size:           8
        .value_kind:     global_buffer
      - .address_space:  global
        .offset:         72
        .size:           8
        .value_kind:     global_buffer
      - .offset:         80
        .size:           4
        .value_kind:     by_value
      - .address_space:  global
        .offset:         88
        .size:           8
        .value_kind:     global_buffer
      - .address_space:  global
        .offset:         96
        .size:           8
        .value_kind:     global_buffer
    .group_segment_fixed_size: 11264
    .kernarg_segment_align: 8
    .kernarg_segment_size: 104
    .language:       OpenCL C
    .language_version:
      - 2
      - 0
    .max_flat_workgroup_size: 64
    .name:           bluestein_single_fwd_len44_dim1_dp_op_CI_CI
    .private_segment_fixed_size: 0
    .sgpr_count:     44
    .sgpr_spill_count: 0
    .symbol:         bluestein_single_fwd_len44_dim1_dp_op_CI_CI.kd
    .uniform_work_group_size: 1
    .uses_dynamic_stack: false
    .vgpr_count:     196
    .vgpr_spill_count: 0
    .wavefront_size: 64
amdhsa.target:   amdgcn-amd-amdhsa--gfx950
amdhsa.version:
  - 1
  - 2
...

	.end_amdgpu_metadata
